;; amdgpu-corpus repo=ROCm/rocFFT kind=compiled arch=gfx1030 opt=O3
	.text
	.amdgcn_target "amdgcn-amd-amdhsa--gfx1030"
	.amdhsa_code_object_version 6
	.protected	fft_rtc_fwd_len432_factors_3_16_3_3_wgs_54_tpt_27_halfLds_dp_ip_CI_unitstride_sbrr_R2C_dirReg ; -- Begin function fft_rtc_fwd_len432_factors_3_16_3_3_wgs_54_tpt_27_halfLds_dp_ip_CI_unitstride_sbrr_R2C_dirReg
	.globl	fft_rtc_fwd_len432_factors_3_16_3_3_wgs_54_tpt_27_halfLds_dp_ip_CI_unitstride_sbrr_R2C_dirReg
	.p2align	8
	.type	fft_rtc_fwd_len432_factors_3_16_3_3_wgs_54_tpt_27_halfLds_dp_ip_CI_unitstride_sbrr_R2C_dirReg,@function
fft_rtc_fwd_len432_factors_3_16_3_3_wgs_54_tpt_27_halfLds_dp_ip_CI_unitstride_sbrr_R2C_dirReg: ; @fft_rtc_fwd_len432_factors_3_16_3_3_wgs_54_tpt_27_halfLds_dp_ip_CI_unitstride_sbrr_R2C_dirReg
; %bb.0:
	s_clause 0x2
	s_load_dwordx4 s[8:11], s[4:5], 0x0
	s_load_dwordx2 s[2:3], s[4:5], 0x50
	s_load_dwordx2 s[12:13], s[4:5], 0x18
	v_mul_u32_u24_e32 v1, 0x97c, v0
	v_mov_b32_e32 v3, 0
	v_lshrrev_b32_e32 v9, 16, v1
	v_mov_b32_e32 v1, 0
	v_mov_b32_e32 v6, v3
	v_mov_b32_e32 v2, 0
	v_lshl_add_u32 v5, s6, 1, v9
	s_waitcnt lgkmcnt(0)
	v_cmp_lt_u64_e64 s0, s[10:11], 2
	s_and_b32 vcc_lo, exec_lo, s0
	s_cbranch_vccnz .LBB0_8
; %bb.1:
	s_load_dwordx2 s[0:1], s[4:5], 0x10
	v_mov_b32_e32 v1, 0
	s_add_u32 s6, s12, 8
	v_mov_b32_e32 v2, 0
	s_addc_u32 s7, s13, 0
	s_mov_b64 s[16:17], 1
	s_waitcnt lgkmcnt(0)
	s_add_u32 s14, s0, 8
	s_addc_u32 s15, s1, 0
.LBB0_2:                                ; =>This Inner Loop Header: Depth=1
	s_load_dwordx2 s[18:19], s[14:15], 0x0
                                        ; implicit-def: $vgpr7_vgpr8
	s_mov_b32 s0, exec_lo
	s_waitcnt lgkmcnt(0)
	v_or_b32_e32 v4, s19, v6
	v_cmpx_ne_u64_e32 0, v[3:4]
	s_xor_b32 s1, exec_lo, s0
	s_cbranch_execz .LBB0_4
; %bb.3:                                ;   in Loop: Header=BB0_2 Depth=1
	v_cvt_f32_u32_e32 v4, s18
	v_cvt_f32_u32_e32 v7, s19
	s_sub_u32 s0, 0, s18
	s_subb_u32 s20, 0, s19
	v_fmac_f32_e32 v4, 0x4f800000, v7
	v_rcp_f32_e32 v4, v4
	v_mul_f32_e32 v4, 0x5f7ffffc, v4
	v_mul_f32_e32 v7, 0x2f800000, v4
	v_trunc_f32_e32 v7, v7
	v_fmac_f32_e32 v4, 0xcf800000, v7
	v_cvt_u32_f32_e32 v7, v7
	v_cvt_u32_f32_e32 v4, v4
	v_mul_lo_u32 v8, s0, v7
	v_mul_hi_u32 v10, s0, v4
	v_mul_lo_u32 v11, s20, v4
	v_add_nc_u32_e32 v8, v10, v8
	v_mul_lo_u32 v10, s0, v4
	v_add_nc_u32_e32 v8, v8, v11
	v_mul_hi_u32 v11, v4, v10
	v_mul_lo_u32 v12, v4, v8
	v_mul_hi_u32 v13, v4, v8
	v_mul_hi_u32 v14, v7, v10
	v_mul_lo_u32 v10, v7, v10
	v_mul_hi_u32 v15, v7, v8
	v_mul_lo_u32 v8, v7, v8
	v_add_co_u32 v11, vcc_lo, v11, v12
	v_add_co_ci_u32_e32 v12, vcc_lo, 0, v13, vcc_lo
	v_add_co_u32 v10, vcc_lo, v11, v10
	v_add_co_ci_u32_e32 v10, vcc_lo, v12, v14, vcc_lo
	v_add_co_ci_u32_e32 v11, vcc_lo, 0, v15, vcc_lo
	v_add_co_u32 v8, vcc_lo, v10, v8
	v_add_co_ci_u32_e32 v10, vcc_lo, 0, v11, vcc_lo
	v_add_co_u32 v4, vcc_lo, v4, v8
	v_add_co_ci_u32_e32 v7, vcc_lo, v7, v10, vcc_lo
	v_mul_hi_u32 v8, s0, v4
	v_mul_lo_u32 v11, s20, v4
	v_mul_lo_u32 v10, s0, v7
	v_add_nc_u32_e32 v8, v8, v10
	v_mul_lo_u32 v10, s0, v4
	v_add_nc_u32_e32 v8, v8, v11
	v_mul_hi_u32 v11, v4, v10
	v_mul_lo_u32 v12, v4, v8
	v_mul_hi_u32 v13, v4, v8
	v_mul_hi_u32 v14, v7, v10
	v_mul_lo_u32 v10, v7, v10
	v_mul_hi_u32 v15, v7, v8
	v_mul_lo_u32 v8, v7, v8
	v_add_co_u32 v11, vcc_lo, v11, v12
	v_add_co_ci_u32_e32 v12, vcc_lo, 0, v13, vcc_lo
	v_add_co_u32 v10, vcc_lo, v11, v10
	v_add_co_ci_u32_e32 v10, vcc_lo, v12, v14, vcc_lo
	v_add_co_ci_u32_e32 v11, vcc_lo, 0, v15, vcc_lo
	v_add_co_u32 v8, vcc_lo, v10, v8
	v_add_co_ci_u32_e32 v10, vcc_lo, 0, v11, vcc_lo
	v_add_co_u32 v4, vcc_lo, v4, v8
	v_add_co_ci_u32_e32 v12, vcc_lo, v7, v10, vcc_lo
	v_mul_hi_u32 v14, v5, v4
	v_mad_u64_u32 v[10:11], null, v6, v4, 0
	v_mad_u64_u32 v[7:8], null, v5, v12, 0
	;; [unrolled: 1-line block ×3, first 2 shown]
	v_add_co_u32 v4, vcc_lo, v14, v7
	v_add_co_ci_u32_e32 v7, vcc_lo, 0, v8, vcc_lo
	v_add_co_u32 v4, vcc_lo, v4, v10
	v_add_co_ci_u32_e32 v4, vcc_lo, v7, v11, vcc_lo
	v_add_co_ci_u32_e32 v7, vcc_lo, 0, v13, vcc_lo
	v_add_co_u32 v4, vcc_lo, v4, v12
	v_add_co_ci_u32_e32 v10, vcc_lo, 0, v7, vcc_lo
	v_mul_lo_u32 v11, s19, v4
	v_mad_u64_u32 v[7:8], null, s18, v4, 0
	v_mul_lo_u32 v12, s18, v10
	v_sub_co_u32 v7, vcc_lo, v5, v7
	v_add3_u32 v8, v8, v12, v11
	v_sub_nc_u32_e32 v11, v6, v8
	v_subrev_co_ci_u32_e64 v11, s0, s19, v11, vcc_lo
	v_add_co_u32 v12, s0, v4, 2
	v_add_co_ci_u32_e64 v13, s0, 0, v10, s0
	v_sub_co_u32 v14, s0, v7, s18
	v_sub_co_ci_u32_e32 v8, vcc_lo, v6, v8, vcc_lo
	v_subrev_co_ci_u32_e64 v11, s0, 0, v11, s0
	v_cmp_le_u32_e32 vcc_lo, s18, v14
	v_cmp_eq_u32_e64 s0, s19, v8
	v_cndmask_b32_e64 v14, 0, -1, vcc_lo
	v_cmp_le_u32_e32 vcc_lo, s19, v11
	v_cndmask_b32_e64 v15, 0, -1, vcc_lo
	v_cmp_le_u32_e32 vcc_lo, s18, v7
	;; [unrolled: 2-line block ×3, first 2 shown]
	v_cndmask_b32_e64 v16, 0, -1, vcc_lo
	v_cmp_eq_u32_e32 vcc_lo, s19, v11
	v_cndmask_b32_e64 v7, v16, v7, s0
	v_cndmask_b32_e32 v11, v15, v14, vcc_lo
	v_add_co_u32 v14, vcc_lo, v4, 1
	v_add_co_ci_u32_e32 v15, vcc_lo, 0, v10, vcc_lo
	v_cmp_ne_u32_e32 vcc_lo, 0, v11
	v_cndmask_b32_e32 v8, v15, v13, vcc_lo
	v_cndmask_b32_e32 v11, v14, v12, vcc_lo
	v_cmp_ne_u32_e32 vcc_lo, 0, v7
	v_cndmask_b32_e32 v8, v10, v8, vcc_lo
	v_cndmask_b32_e32 v7, v4, v11, vcc_lo
.LBB0_4:                                ;   in Loop: Header=BB0_2 Depth=1
	s_andn2_saveexec_b32 s0, s1
	s_cbranch_execz .LBB0_6
; %bb.5:                                ;   in Loop: Header=BB0_2 Depth=1
	v_cvt_f32_u32_e32 v4, s18
	s_sub_i32 s1, 0, s18
	v_rcp_iflag_f32_e32 v4, v4
	v_mul_f32_e32 v4, 0x4f7ffffe, v4
	v_cvt_u32_f32_e32 v4, v4
	v_mul_lo_u32 v7, s1, v4
	v_mul_hi_u32 v7, v4, v7
	v_add_nc_u32_e32 v4, v4, v7
	v_mul_hi_u32 v4, v5, v4
	v_mul_lo_u32 v7, v4, s18
	v_add_nc_u32_e32 v8, 1, v4
	v_sub_nc_u32_e32 v7, v5, v7
	v_subrev_nc_u32_e32 v10, s18, v7
	v_cmp_le_u32_e32 vcc_lo, s18, v7
	v_cndmask_b32_e32 v7, v7, v10, vcc_lo
	v_cndmask_b32_e32 v4, v4, v8, vcc_lo
	v_cmp_le_u32_e32 vcc_lo, s18, v7
	v_add_nc_u32_e32 v8, 1, v4
	v_cndmask_b32_e32 v7, v4, v8, vcc_lo
	v_mov_b32_e32 v8, v3
.LBB0_6:                                ;   in Loop: Header=BB0_2 Depth=1
	s_or_b32 exec_lo, exec_lo, s0
	s_load_dwordx2 s[0:1], s[6:7], 0x0
	v_mul_lo_u32 v4, v8, s18
	v_mul_lo_u32 v12, v7, s19
	v_mad_u64_u32 v[10:11], null, v7, s18, 0
	s_add_u32 s16, s16, 1
	s_addc_u32 s17, s17, 0
	s_add_u32 s6, s6, 8
	s_addc_u32 s7, s7, 0
	;; [unrolled: 2-line block ×3, first 2 shown]
	v_add3_u32 v4, v11, v12, v4
	v_sub_co_u32 v5, vcc_lo, v5, v10
	v_sub_co_ci_u32_e32 v4, vcc_lo, v6, v4, vcc_lo
	s_waitcnt lgkmcnt(0)
	v_mul_lo_u32 v6, s1, v5
	v_mul_lo_u32 v4, s0, v4
	v_mad_u64_u32 v[1:2], null, s0, v5, v[1:2]
	v_cmp_ge_u64_e64 s0, s[16:17], s[10:11]
	s_and_b32 vcc_lo, exec_lo, s0
	v_add3_u32 v2, v6, v2, v4
	s_cbranch_vccnz .LBB0_9
; %bb.7:                                ;   in Loop: Header=BB0_2 Depth=1
	v_mov_b32_e32 v5, v7
	v_mov_b32_e32 v6, v8
	s_branch .LBB0_2
.LBB0_8:
	v_mov_b32_e32 v8, v6
	v_mov_b32_e32 v7, v5
.LBB0_9:
	s_lshl_b64 s[0:1], s[10:11], 3
	v_mul_hi_u32 v3, 0x97b425f, v0
	s_add_u32 s0, s12, s0
	s_addc_u32 s1, s13, s1
	s_load_dwordx2 s[4:5], s[4:5], 0x20
	s_load_dwordx2 s[0:1], s[0:1], 0x0
	v_and_b32_e32 v4, 1, v9
	v_mul_u32_u24_e32 v3, 27, v3
	v_sub_nc_u32_e32 v72, v0, v3
	v_add_nc_u32_e32 v74, 27, v72
	v_add_nc_u32_e32 v84, 54, v72
	;; [unrolled: 1-line block ×5, first 2 shown]
	s_waitcnt lgkmcnt(0)
	v_cmp_gt_u64_e32 vcc_lo, s[4:5], v[7:8]
	v_mul_lo_u32 v3, s0, v8
	v_mul_lo_u32 v5, s1, v7
	v_mad_u64_u32 v[0:1], null, s0, v7, v[1:2]
	v_cmp_le_u64_e64 s1, s[4:5], v[7:8]
	v_cmp_eq_u32_e64 s0, 1, v4
	v_add3_u32 v1, v5, v1, v3
	s_and_saveexec_b32 s4, s1
	s_xor_b32 s1, exec_lo, s4
; %bb.10:
	v_add_nc_u32_e32 v74, 27, v72
	v_add_nc_u32_e32 v84, 54, v72
	;; [unrolled: 1-line block ×5, first 2 shown]
; %bb.11:
	s_or_saveexec_b32 s1, s1
	v_cndmask_b32_e64 v2, 0, 0x1b1, s0
	v_lshlrev_b64 v[76:77], 4, v[0:1]
	v_lshlrev_b32_e32 v75, 4, v72
	v_lshlrev_b32_e32 v79, 4, v2
	s_xor_b32 exec_lo, exec_lo, s1
	s_cbranch_execz .LBB0_13
; %bb.12:
	v_mov_b32_e32 v73, 0
	v_add_co_u32 v2, s0, s2, v76
	v_add_co_ci_u32_e64 v3, s0, s3, v77, s0
	v_lshlrev_b64 v[0:1], 4, v[72:73]
	v_add3_u32 v64, 0, v79, v75
	v_add_co_u32 v16, s0, v2, v0
	v_add_co_ci_u32_e64 v17, s0, v3, v1, s0
	s_clause 0x3
	global_load_dwordx4 v[0:3], v[16:17], off
	global_load_dwordx4 v[4:7], v[16:17], off offset:432
	global_load_dwordx4 v[8:11], v[16:17], off offset:864
	;; [unrolled: 1-line block ×3, first 2 shown]
	v_add_co_u32 v36, s0, 0x800, v16
	v_add_co_ci_u32_e64 v37, s0, 0, v17, s0
	v_add_co_u32 v56, s0, 0x1000, v16
	v_add_co_ci_u32_e64 v57, s0, 0, v17, s0
	v_add_co_u32 v60, s0, 0x1800, v16
	v_add_co_ci_u32_e64 v61, s0, 0, v17, s0
	s_clause 0xb
	global_load_dwordx4 v[16:19], v[16:17], off offset:1728
	global_load_dwordx4 v[20:23], v[36:37], off offset:112
	;; [unrolled: 1-line block ×12, first 2 shown]
	s_waitcnt vmcnt(15)
	ds_write_b128 v64, v[0:3]
	s_waitcnt vmcnt(14)
	ds_write_b128 v64, v[4:7] offset:432
	s_waitcnt vmcnt(13)
	ds_write_b128 v64, v[8:11] offset:864
	s_waitcnt vmcnt(12)
	ds_write_b128 v64, v[12:15] offset:1296
	s_waitcnt vmcnt(11)
	ds_write_b128 v64, v[16:19] offset:1728
	s_waitcnt vmcnt(10)
	ds_write_b128 v64, v[20:23] offset:2160
	s_waitcnt vmcnt(9)
	ds_write_b128 v64, v[24:27] offset:2592
	s_waitcnt vmcnt(8)
	ds_write_b128 v64, v[28:31] offset:3024
	s_waitcnt vmcnt(7)
	ds_write_b128 v64, v[32:35] offset:3456
	s_waitcnt vmcnt(6)
	ds_write_b128 v64, v[36:39] offset:3888
	s_waitcnt vmcnt(5)
	ds_write_b128 v64, v[40:43] offset:4320
	s_waitcnt vmcnt(4)
	ds_write_b128 v64, v[44:47] offset:4752
	s_waitcnt vmcnt(3)
	ds_write_b128 v64, v[48:51] offset:5184
	s_waitcnt vmcnt(2)
	ds_write_b128 v64, v[52:55] offset:5616
	s_waitcnt vmcnt(1)
	ds_write_b128 v64, v[56:59] offset:6048
	s_waitcnt vmcnt(0)
	ds_write_b128 v64, v[60:63] offset:6480
.LBB0_13:
	s_or_b32 exec_lo, exec_lo, s1
	v_add_nc_u32_e32 v0, 0, v75
	v_add_nc_u32_e32 v90, 0, v79
	s_waitcnt lgkmcnt(0)
	s_barrier
	buffer_gl0_inv
	v_add_nc_u32_e32 v73, v0, v79
	v_add_nc_u32_e32 v89, v90, v75
	s_mov_b32 s0, 0xe8584caa
	s_mov_b32 s1, 0x3febb67a
	;; [unrolled: 1-line block ×3, first 2 shown]
	ds_read_b128 v[0:3], v73 offset:2304
	ds_read_b128 v[4:7], v89
	ds_read_b128 v[20:23], v73 offset:432
	ds_read_b128 v[24:27], v73 offset:2736
	;; [unrolled: 1-line block ×16, first 2 shown]
	s_mov_b32 s4, s0
	v_mad_u32_u24 v81, v72, 48, v90
	s_waitcnt lgkmcnt(0)
	v_add_f64 v[85:86], v[4:5], v[0:1]
	v_add_f64 v[87:88], v[6:7], v[2:3]
	;; [unrolled: 1-line block ×12, first 2 shown]
	v_add_f64 v[101:102], v[2:3], -v[38:39]
	v_add_f64 v[115:116], v[56:57], v[52:53]
	v_add_f64 v[123:124], v[28:29], v[60:61]
	;; [unrolled: 1-line block ×3, first 2 shown]
	v_add_f64 v[105:106], v[0:1], -v[36:37]
	v_add_f64 v[109:110], v[26:27], -v[42:43]
	v_add_f64 v[119:120], v[58:59], v[54:55]
	v_add_f64 v[121:122], v[24:25], -v[40:41]
	v_add_f64 v[125:126], v[30:31], -v[62:63]
	;; [unrolled: 1-line block ×3, first 2 shown]
	v_add_f64 v[0:1], v[85:86], v[36:37]
	v_add_f64 v[2:3], v[87:88], v[38:39]
	;; [unrolled: 1-line block ×5, first 2 shown]
	v_fma_f64 v[4:5], v[99:100], -0.5, v[4:5]
	v_add_f64 v[30:31], v[97:98], v[62:63]
	v_add_f64 v[60:61], v[48:49], v[64:65]
	v_add_f64 v[85:86], v[50:51], -v[66:67]
	v_add_f64 v[62:63], v[50:51], v[66:67]
	v_fma_f64 v[6:7], v[103:104], -0.5, v[6:7]
	v_add_f64 v[38:39], v[113:114], v[66:67]
	v_add_f64 v[66:67], v[54:55], v[70:71]
	v_add_f64 v[91:92], v[12:13], v[16:17]
	v_add_f64 v[93:94], v[54:55], -v[70:71]
	v_add_f64 v[54:55], v[14:15], v[18:19]
	v_add_f64 v[87:88], v[48:49], -v[64:65]
	v_add_f64 v[36:37], v[111:112], v[64:65]
	v_add_f64 v[64:65], v[52:53], v[68:69]
	v_fma_f64 v[20:21], v[107:108], -0.5, v[20:21]
	v_fma_f64 v[22:23], v[117:118], -0.5, v[22:23]
	v_add_f64 v[40:41], v[115:116], v[68:69]
	v_add_f64 v[95:96], v[52:53], -v[68:69]
	v_fma_f64 v[68:69], v[123:124], -0.5, v[32:33]
	v_add_f64 v[42:43], v[119:120], v[70:71]
	v_add_f64 v[103:104], v[14:15], -v[18:19]
	v_add_f64 v[107:108], v[12:13], -v[16:17]
	v_fma_f64 v[48:49], v[101:102], s[0:1], v[4:5]
	v_fma_f64 v[32:33], v[101:102], s[4:5], v[4:5]
	v_fma_f64 v[4:5], v[127:128], -0.5, v[34:35]
	v_fma_f64 v[70:71], v[60:61], -0.5, v[44:45]
	s_barrier
	v_fma_f64 v[50:51], v[105:106], s[4:5], v[6:7]
	v_fma_f64 v[34:35], v[105:106], s[0:1], v[6:7]
	v_fma_f64 v[6:7], v[62:63], -0.5, v[46:47]
	v_fma_f64 v[101:102], v[91:92], -0.5, v[8:9]
	;; [unrolled: 1-line block ×4, first 2 shown]
	buffer_gl0_inv
	ds_write_b128 v81, v[0:3]
	v_fma_f64 v[97:98], v[64:65], -0.5, v[56:57]
	v_fma_f64 v[44:45], v[109:110], s[0:1], v[20:21]
	v_fma_f64 v[46:47], v[121:122], s[4:5], v[22:23]
	;; [unrolled: 1-line block ×6, first 2 shown]
	v_mad_i32_i24 v22, v74, 48, v90
	v_mad_i32_i24 v20, v84, 48, 0
	;; [unrolled: 1-line block ×3, first 2 shown]
	ds_write_b128 v81, v[48:51] offset:16
	ds_write_b128 v81, v[32:35] offset:32
	ds_write_b128 v22, v[24:27]
	v_fma_f64 v[58:59], v[129:130], s[4:5], v[4:5]
	v_fma_f64 v[62:63], v[129:130], s[0:1], v[4:5]
	;; [unrolled: 1-line block ×14, first 2 shown]
	v_add_nc_u32_e32 v23, v20, v79
	ds_write_b128 v22, v[44:47] offset:16
	ds_write_b128 v22, v[52:55] offset:32
	v_mad_i32_i24 v22, v80, 48, 0
	v_add_nc_u32_e32 v24, v21, v79
	v_cmp_gt_u32_e64 s0, 9, v72
	ds_write_b128 v23, v[28:31]
	ds_write_b128 v23, v[56:59] offset:16
	ds_write_b128 v23, v[60:63] offset:32
	v_add_nc_u32_e32 v23, v22, v79
	ds_write_b128 v24, v[36:39]
	ds_write_b128 v24, v[64:67] offset:16
	ds_write_b128 v24, v[68:71] offset:32
	ds_write_b128 v23, v[40:43]
	ds_write_b128 v23, v[85:88] offset:16
	ds_write_b128 v23, v[91:94] offset:32
	s_and_saveexec_b32 s1, s0
	s_cbranch_execz .LBB0_15
; %bb.14:
	v_add_f64 v[10:11], v[10:11], v[14:15]
	v_add_f64 v[8:9], v[8:9], v[12:13]
	v_mul_i32_i24_e32 v12, 48, v78
	v_add3_u32 v12, 0, v12, v79
	v_add_f64 v[10:11], v[10:11], v[18:19]
	v_add_f64 v[8:9], v[8:9], v[16:17]
	ds_write_b128 v12, v[0:3] offset:16
	ds_write_b128 v12, v[8:11]
	ds_write_b128 v12, v[4:7] offset:32
.LBB0_15:
	s_or_b32 exec_lo, exec_lo, s1
	v_and_b32_e32 v8, 0xff, v72
	v_mov_b32_e32 v10, 15
	s_waitcnt lgkmcnt(0)
	s_barrier
	buffer_gl0_inv
	v_mul_lo_u16 v8, 0xab, v8
	v_lshlrev_b32_e32 v11, 5, v80
	s_mov_b32 s4, 0x667f3bcd
	s_mov_b32 s5, 0xbfe6a09e
	;; [unrolled: 1-line block ×3, first 2 shown]
	v_lshrrev_b16 v8, 9, v8
	s_mov_b32 s6, s4
	s_mov_b32 s10, 0xcf328d46
	;; [unrolled: 1-line block ×4, first 2 shown]
	v_mul_lo_u16 v9, v8, 3
	s_mov_b32 s16, s10
	s_mov_b32 s12, 0xa6aea964
	;; [unrolled: 1-line block ×4, first 2 shown]
	v_sub_nc_u16 v12, v72, v9
	s_mov_b32 s14, s12
	v_mul_u32_u24_sdwa v9, v12, v10 dst_sel:DWORD dst_unused:UNUSED_PAD src0_sel:BYTE_0 src1_sel:DWORD
	v_lshlrev_b32_e32 v10, 4, v74
	v_lshlrev_b32_e32 v9, 4, v9
	v_add3_u32 v92, 0, v10, v79
	v_lshlrev_b32_e32 v10, 5, v82
	s_clause 0xe
	global_load_dwordx4 v[13:16], v9, s[8:9]
	global_load_dwordx4 v[23:26], v9, s[8:9] offset:16
	global_load_dwordx4 v[27:30], v9, s[8:9] offset:32
	;; [unrolled: 1-line block ×14, first 2 shown]
	v_lshlrev_b32_e32 v9, 5, v84
	v_sub_nc_u32_e32 v9, v20, v9
	ds_read_b128 v[17:20], v92
	v_add_nc_u32_e32 v91, v9, v79
	v_sub_nc_u32_e32 v9, v21, v10
	v_sub_nc_u32_e32 v10, v22, v11
	ds_read_b128 v[101:104], v91
	v_add_nc_u32_e32 v83, v9, v79
	v_lshlrev_b32_e32 v9, 4, v78
	v_add_nc_u32_e32 v81, v10, v79
	ds_read_b128 v[105:108], v83
	v_add3_u32 v87, 0, v9, v79
	ds_read_b128 v[109:112], v81
	ds_read_b128 v[113:116], v73 offset:6480
	ds_read_b128 v[117:120], v87
	ds_read_b128 v[121:124], v73 offset:2592
	ds_read_b128 v[125:128], v73 offset:3024
	;; [unrolled: 1-line block ×3, first 2 shown]
	s_waitcnt vmcnt(14) lgkmcnt(8)
	v_mul_f64 v[9:10], v[19:20], v[15:16]
	v_mul_f64 v[15:16], v[17:18], v[15:16]
	s_waitcnt vmcnt(12) lgkmcnt(6)
	v_mul_f64 v[85:86], v[107:108], v[29:30]
	v_mul_f64 v[29:30], v[105:106], v[29:30]
	s_waitcnt vmcnt(11) lgkmcnt(5)
	v_mul_f64 v[133:134], v[111:112], v[33:34]
	s_waitcnt vmcnt(9) lgkmcnt(2)
	v_mul_f64 v[139:140], v[123:124], v[41:42]
	v_mul_f64 v[41:42], v[121:122], v[41:42]
	;; [unrolled: 1-line block ×7, first 2 shown]
	v_fma_f64 v[9:10], v[17:18], v[13:14], -v[9:10]
	v_fma_f64 v[137:138], v[19:20], v[13:14], v[15:16]
	ds_read_b128 v[13:16], v73 offset:5184
	ds_read_b128 v[17:20], v89
	v_fma_f64 v[85:86], v[105:106], v[27:28], -v[85:86]
	v_fma_f64 v[105:106], v[107:108], v[27:28], v[29:30]
	s_waitcnt vmcnt(8) lgkmcnt(3)
	v_mul_f64 v[107:108], v[127:128], v[45:46]
	v_mul_f64 v[45:46], v[125:126], v[45:46]
	v_fma_f64 v[109:110], v[109:110], v[31:32], -v[133:134]
	s_waitcnt vmcnt(7) lgkmcnt(2)
	v_mul_f64 v[133:134], v[131:132], v[49:50]
	v_mul_f64 v[49:50], v[129:130], v[49:50]
	v_fma_f64 v[121:122], v[121:122], v[39:40], -v[139:140]
	v_fma_f64 v[39:40], v[123:124], v[39:40], v[41:42]
	v_fma_f64 v[141:142], v[101:102], v[23:24], -v[21:22]
	v_fma_f64 v[143:144], v[103:104], v[23:24], v[25:26]
	ds_read_b128 v[21:24], v73 offset:3888
	ds_read_b128 v[25:28], v73 offset:4320
	v_fma_f64 v[111:112], v[111:112], v[31:32], v[33:34]
	ds_read_b128 v[29:32], v73 offset:5616
	ds_read_b128 v[101:104], v73 offset:6048
	v_fma_f64 v[117:118], v[117:118], v[35:36], -v[135:136]
	v_fma_f64 v[37:38], v[119:120], v[35:36], v[37:38]
	ds_read_b128 v[33:36], v73 offset:4752
	s_waitcnt vmcnt(0) lgkmcnt(0)
	v_mul_f64 v[41:42], v[13:14], v[53:54]
	v_mul_f64 v[119:120], v[15:16], v[53:54]
	s_barrier
	buffer_gl0_inv
	v_fma_f64 v[107:108], v[125:126], v[43:44], -v[107:108]
	v_fma_f64 v[43:44], v[127:128], v[43:44], v[45:46]
	v_fma_f64 v[127:128], v[129:130], v[47:48], -v[133:134]
	v_fma_f64 v[47:48], v[131:132], v[47:48], v[49:50]
	v_mul_f64 v[129:130], v[113:114], v[99:100]
	v_mul_f64 v[53:54], v[23:24], v[57:58]
	;; [unrolled: 1-line block ×11, first 2 shown]
	v_fma_f64 v[15:16], v[15:16], v[51:52], v[41:42]
	v_mul_f64 v[41:42], v[115:116], v[99:100]
	v_fma_f64 v[13:14], v[13:14], v[51:52], -v[119:120]
	v_add_f64 v[47:48], v[19:20], -v[47:48]
	v_fma_f64 v[21:22], v[21:22], v[55:56], -v[53:54]
	v_fma_f64 v[23:24], v[23:24], v[55:56], v[57:58]
	v_fma_f64 v[25:26], v[25:26], v[59:60], -v[123:124]
	v_fma_f64 v[27:28], v[27:28], v[59:60], v[45:46]
	v_fma_f64 v[29:30], v[29:30], v[63:64], -v[61:62]
	v_fma_f64 v[45:46], v[101:102], v[67:68], -v[125:126]
	v_fma_f64 v[51:52], v[103:104], v[67:68], v[69:70]
	v_fma_f64 v[31:32], v[31:32], v[63:64], v[49:50]
	v_fma_f64 v[33:34], v[33:34], v[93:94], -v[65:66]
	v_fma_f64 v[35:36], v[35:36], v[93:94], v[95:96]
	v_fma_f64 v[49:50], v[115:116], v[97:98], v[129:130]
	v_fma_f64 v[41:42], v[113:114], v[97:98], -v[41:42]
	v_add_f64 v[53:54], v[17:18], -v[127:128]
	v_add_f64 v[13:14], v[109:110], -v[13:14]
	;; [unrolled: 1-line block ×3, first 2 shown]
	v_fma_f64 v[19:20], v[19:20], 2.0, -v[47:48]
	v_add_f64 v[21:22], v[9:10], -v[21:22]
	v_add_f64 v[23:24], v[137:138], -v[23:24]
	;; [unrolled: 1-line block ×12, first 2 shown]
	v_fma_f64 v[17:18], v[17:18], 2.0, -v[53:54]
	v_fma_f64 v[55:56], v[109:110], 2.0, -v[13:14]
	v_add_f64 v[57:58], v[53:54], -v[15:16]
	v_add_f64 v[13:14], v[47:48], v[13:14]
	v_fma_f64 v[15:16], v[111:112], 2.0, -v[15:16]
	v_fma_f64 v[9:10], v[9:10], 2.0, -v[21:22]
	;; [unrolled: 1-line block ×4, first 2 shown]
	v_add_f64 v[65:66], v[23:24], v[29:30]
	v_add_f64 v[61:62], v[27:28], v[45:46]
	v_add_f64 v[59:60], v[25:26], -v[51:52]
	v_add_f64 v[63:64], v[21:22], -v[31:32]
	v_fma_f64 v[45:46], v[121:122], 2.0, -v[45:46]
	v_fma_f64 v[39:40], v[39:40], 2.0, -v[51:52]
	v_add_f64 v[67:68], v[33:34], -v[49:50]
	v_add_f64 v[69:70], v[35:36], v[41:42]
	v_fma_f64 v[51:52], v[137:138], 2.0, -v[23:24]
	v_fma_f64 v[29:30], v[117:118], 2.0, -v[29:30]
	;; [unrolled: 1-line block ×9, first 2 shown]
	v_add_f64 v[53:54], v[17:18], -v[55:56]
	v_add_f64 v[15:16], v[19:20], -v[15:16]
	v_fma_f64 v[23:24], v[23:24], 2.0, -v[65:66]
	v_fma_f64 v[27:28], v[27:28], 2.0, -v[61:62]
	;; [unrolled: 1-line block ×4, first 2 shown]
	v_add_f64 v[45:46], v[93:94], -v[45:46]
	v_add_f64 v[39:40], v[95:96], -v[39:40]
	v_fma_f64 v[33:34], v[33:34], 2.0, -v[67:68]
	v_fma_f64 v[35:36], v[35:36], 2.0, -v[69:70]
	v_fma_f64 v[97:98], v[61:62], s[6:7], v[13:14]
	v_add_f64 v[29:30], v[9:10], -v[29:30]
	v_add_f64 v[31:32], v[51:52], -v[31:32]
	v_fma_f64 v[55:56], v[59:60], s[6:7], v[57:58]
	v_fma_f64 v[99:100], v[67:68], s[6:7], v[63:64]
	v_add_f64 v[41:42], v[37:38], -v[41:42]
	v_add_f64 v[43:44], v[85:86], -v[43:44]
	v_fma_f64 v[101:102], v[69:70], s[6:7], v[65:66]
	v_fma_f64 v[17:18], v[17:18], 2.0, -v[53:54]
	v_fma_f64 v[19:20], v[19:20], 2.0, -v[15:16]
	v_fma_f64 v[105:106], v[27:28], s[4:5], v[47:48]
	v_fma_f64 v[103:104], v[25:26], s[4:5], v[49:50]
	v_fma_f64 v[93:94], v[93:94], 2.0, -v[45:46]
	v_fma_f64 v[95:96], v[95:96], 2.0, -v[39:40]
	v_fma_f64 v[107:108], v[33:34], s[4:5], v[21:22]
	v_fma_f64 v[109:110], v[35:36], s[4:5], v[23:24]
	v_add_f64 v[111:112], v[53:54], -v[39:40]
	v_fma_f64 v[9:10], v[9:10], 2.0, -v[29:30]
	v_fma_f64 v[51:52], v[51:52], 2.0, -v[31:32]
	v_add_f64 v[113:114], v[15:16], v[45:46]
	v_fma_f64 v[59:60], v[59:60], s[6:7], v[97:98]
	v_fma_f64 v[37:38], v[37:38], 2.0, -v[41:42]
	v_fma_f64 v[39:40], v[85:86], 2.0, -v[43:44]
	v_add_f64 v[43:44], v[29:30], -v[43:44]
	v_add_f64 v[41:42], v[31:32], v[41:42]
	v_fma_f64 v[55:56], v[61:62], s[4:5], v[55:56]
	v_fma_f64 v[45:46], v[69:70], s[4:5], v[99:100]
	;; [unrolled: 1-line block ×5, first 2 shown]
	v_add_f64 v[85:86], v[17:18], -v[93:94]
	v_add_f64 v[93:94], v[19:20], -v[95:96]
	v_fma_f64 v[35:36], v[35:36], s[4:5], v[107:108]
	v_fma_f64 v[33:34], v[33:34], s[6:7], v[109:110]
	v_fma_f64 v[95:96], v[53:54], 2.0, -v[111:112]
	v_fma_f64 v[97:98], v[15:16], 2.0, -v[113:114]
	;; [unrolled: 1-line block ×3, first 2 shown]
	v_add_f64 v[15:16], v[9:10], -v[37:38]
	v_add_f64 v[13:14], v[51:52], -v[39:40]
	v_fma_f64 v[27:28], v[29:30], 2.0, -v[43:44]
	v_fma_f64 v[25:26], v[31:32], 2.0, -v[41:42]
	;; [unrolled: 1-line block ×7, first 2 shown]
	v_fma_f64 v[47:48], v[45:46], s[16:17], v[55:56]
	v_fma_f64 v[49:50], v[61:62], s[16:17], v[59:60]
	v_fma_f64 v[53:54], v[17:18], 2.0, -v[85:86]
	v_fma_f64 v[39:40], v[21:22], 2.0, -v[35:36]
	;; [unrolled: 1-line block ×3, first 2 shown]
	v_fma_f64 v[21:22], v[43:44], s[6:7], v[111:112]
	v_fma_f64 v[23:24], v[41:42], s[6:7], v[113:114]
	v_fma_f64 v[57:58], v[19:20], 2.0, -v[93:94]
	v_fma_f64 v[117:118], v[35:36], s[14:15], v[67:68]
	v_fma_f64 v[119:120], v[33:34], s[14:15], v[69:70]
	v_fma_f64 v[63:64], v[9:10], 2.0, -v[15:16]
	v_fma_f64 v[51:52], v[51:52], 2.0, -v[13:14]
	v_fma_f64 v[65:66], v[27:28], s[4:5], v[95:96]
	v_fma_f64 v[107:108], v[25:26], s[4:5], v[97:98]
	v_mov_b32_e32 v9, 48
	v_fma_f64 v[109:110], v[31:32], s[12:13], v[99:100]
	v_fma_f64 v[115:116], v[29:30], s[12:13], v[101:102]
	v_add_f64 v[13:14], v[85:86], -v[13:14]
	v_add_f64 v[15:16], v[93:94], v[15:16]
	v_mul_u32_u24_sdwa v71, v8, v9 dst_sel:DWORD dst_unused:UNUSED_PAD src0_sel:WORD_0 src1_sel:DWORD
	v_fma_f64 v[8:9], v[61:62], s[12:13], v[47:48]
	v_fma_f64 v[10:11], v[45:46], s[14:15], v[49:50]
	v_or_b32_sdwa v12, v71, v12 dst_sel:DWORD dst_unused:UNUSED_PAD src0_sel:DWORD src1_sel:BYTE_0
	v_fma_f64 v[121:122], v[39:40], s[10:11], v[103:104]
	v_fma_f64 v[123:124], v[37:38], s[10:11], v[105:106]
	;; [unrolled: 1-line block ×4, first 2 shown]
	v_lshlrev_b32_e32 v12, 4, v12
	v_fma_f64 v[33:34], v[33:34], s[10:11], v[117:118]
	v_fma_f64 v[35:36], v[35:36], s[16:17], v[119:120]
	v_add_f64 v[21:22], v[53:54], -v[63:64]
	v_add_f64 v[23:24], v[57:58], -v[51:52]
	v_fma_f64 v[25:26], v[25:26], s[4:5], v[65:66]
	v_fma_f64 v[27:28], v[27:28], s[6:7], v[107:108]
	v_add3_u32 v12, 0, v12, v79
	v_fma_f64 v[29:30], v[29:30], s[10:11], v[109:110]
	v_fma_f64 v[31:32], v[31:32], s[16:17], v[115:116]
	v_fma_f64 v[41:42], v[85:86], 2.0, -v[13:14]
	v_fma_f64 v[43:44], v[93:94], 2.0, -v[15:16]
	;; [unrolled: 1-line block ×4, first 2 shown]
	v_fma_f64 v[37:38], v[37:38], s[12:13], v[121:122]
	v_fma_f64 v[39:40], v[39:40], s[14:15], v[123:124]
	v_fma_f64 v[45:46], v[111:112], 2.0, -v[17:18]
	v_fma_f64 v[47:48], v[113:114], 2.0, -v[19:20]
	;; [unrolled: 1-line block ×12, first 2 shown]
	ds_write_b128 v12, v[13:16] offset:576
	ds_write_b128 v12, v[17:20] offset:672
	ds_write_b128 v12, v[8:11] offset:720
	ds_write_b128 v12, v[41:44] offset:192
	ds_write_b128 v12, v[45:48] offset:288
	ds_write_b128 v12, v[49:52] offset:336
	ds_write_b128 v12, v[21:24] offset:384
	ds_write_b128 v12, v[25:28] offset:480
	ds_write_b128 v12, v[29:32] offset:528
	ds_write_b128 v12, v[33:36] offset:624
	ds_write_b128 v12, v[53:56]
	ds_write_b128 v12, v[57:60] offset:96
	ds_write_b128 v12, v[61:64] offset:144
	;; [unrolled: 1-line block ×5, first 2 shown]
	s_waitcnt lgkmcnt(0)
	s_barrier
	buffer_gl0_inv
	ds_read_b128 v[20:23], v89
	ds_read_b128 v[68:71], v73 offset:2304
	ds_read_b128 v[60:63], v73 offset:4608
	;; [unrolled: 1-line block ×5, first 2 shown]
	ds_read_b128 v[24:27], v91
	ds_read_b128 v[12:15], v83
	ds_read_b128 v[56:59], v73 offset:5472
	ds_read_b128 v[32:35], v73 offset:5904
	ds_read_b128 v[16:19], v81
	ds_read_b128 v[44:47], v73 offset:3600
	ds_read_b128 v[36:39], v73 offset:4032
	ds_read_b128 v[28:31], v92
	ds_read_b128 v[40:43], v73 offset:6336
	s_and_saveexec_b32 s1, s0
	s_cbranch_execz .LBB0_17
; %bb.16:
	ds_read_b128 v[8:11], v87
	ds_read_b128 v[0:3], v73 offset:4464
	ds_read_b128 v[4:7], v73 offset:6768
.LBB0_17:
	s_or_b32 exec_lo, exec_lo, s1
	v_lshlrev_b32_e32 v104, 1, v72
	v_mov_b32_e32 v105, 0
	v_subrev_nc_u32_e32 v88, 21, v72
	v_and_b32_e32 v111, 0xff, v78
	v_mov_b32_e32 v129, 5
	s_mov_b32 s4, 0xe8584caa
	v_lshlrev_b64 v[85:86], 4, v[104:105]
	v_add_nc_u32_e32 v104, 12, v104
	v_mov_b32_e32 v109, v105
	v_mul_lo_u16 v115, 0xab, v111
	s_mov_b32 s5, 0x3febb67a
	s_mov_b32 s7, 0xbfebb67a
	v_add_co_u32 v85, s1, s8, v85
	v_add_co_ci_u32_e64 v86, s1, s9, v86, s1
	v_lshlrev_b64 v[101:102], 4, v[104:105]
	v_and_b32_e32 v105, 0xff, v80
	s_clause 0x1
	global_load_dwordx4 v[93:96], v[85:86], off offset:720
	global_load_dwordx4 v[97:100], v[85:86], off offset:736
	v_lshrrev_b16 v118, 13, v115
	s_mov_b32 s6, s4
	v_add_co_u32 v106, s1, s8, v101
	v_add_co_ci_u32_e64 v107, s1, s9, v102, s1
	v_cmp_gt_u32_e64 s1, 21, v72
	v_mul_lo_u16 v112, 0xab, v105
	global_load_dwordx4 v[101:104], v[106:107], off offset:720
	v_cndmask_b32_e64 v139, v88, v74, s1
	v_and_b32_e32 v88, 0xff, v82
	v_lshlrev_b32_e32 v108, 1, v139
	v_mul_lo_u16 v88, 0xab, v88
	v_lshlrev_b32_e32 v139, 4, v139
	v_lshlrev_b64 v[109:110], 4, v[108:109]
	v_lshrrev_b16 v140, 13, v88
	v_lshrrev_b16 v88, 13, v112
	v_mul_lo_u16 v117, v140, 48
	v_add_co_u32 v113, s1, s8, v109
	v_add_co_ci_u32_e64 v114, s1, s9, v110, s1
	v_sub_nc_u16 v141, v82, v117
	v_mul_lo_u16 v88, v88, 48
	v_mul_lo_u16 v117, v118, 48
	s_clause 0x1
	global_load_dwordx4 v[109:112], v[113:114], off offset:720
	global_load_dwordx4 v[113:116], v[113:114], off offset:736
	v_lshlrev_b32_sdwa v121, v129, v141 dst_sel:DWORD dst_unused:UNUSED_PAD src0_sel:DWORD src1_sel:BYTE_0
	v_sub_nc_u16 v155, v80, v88
	v_sub_nc_u16 v88, v78, v117
	v_cmp_lt_u32_e64 s1, 20, v72
	s_clause 0x1
	global_load_dwordx4 v[117:120], v121, s[8:9] offset:720
	global_load_dwordx4 v[105:108], v[106:107], off offset:736
	v_lshlrev_b32_sdwa v130, v129, v155 dst_sel:DWORD dst_unused:UNUSED_PAD src0_sel:DWORD src1_sel:BYTE_0
	v_lshlrev_b32_sdwa v142, v129, v88 dst_sel:DWORD dst_unused:UNUSED_PAD src0_sel:DWORD src1_sel:BYTE_0
	s_clause 0x2
	global_load_dwordx4 v[121:124], v121, s[8:9] offset:736
	global_load_dwordx4 v[125:128], v130, s[8:9] offset:720
	;; [unrolled: 1-line block ×3, first 2 shown]
	s_waitcnt vmcnt(9) lgkmcnt(13)
	v_mul_f64 v[133:134], v[70:71], v[95:96]
	v_mul_f64 v[95:96], v[68:69], v[95:96]
	v_fma_f64 v[137:138], v[68:69], v[93:94], -v[133:134]
	global_load_dwordx4 v[133:136], v142, s[8:9] offset:720
	v_fma_f64 v[93:94], v[70:71], v[93:94], v[95:96]
	global_load_dwordx4 v[68:71], v142, s[8:9] offset:736
	s_waitcnt vmcnt(10) lgkmcnt(12)
	v_mul_f64 v[95:96], v[62:63], v[99:100]
	v_mul_f64 v[99:100], v[60:61], v[99:100]
	s_waitcnt vmcnt(0) lgkmcnt(0)
	s_barrier
	buffer_gl0_inv
	v_fma_f64 v[60:61], v[60:61], v[97:98], -v[95:96]
	v_fma_f64 v[62:63], v[62:63], v[97:98], v[99:100]
	v_mul_f64 v[95:96], v[66:67], v[103:104]
	v_mul_f64 v[97:98], v[64:65], v[103:104]
	;; [unrolled: 1-line block ×5, first 2 shown]
	v_fma_f64 v[64:65], v[64:65], v[101:102], -v[95:96]
	v_fma_f64 v[66:67], v[66:67], v[101:102], v[97:98]
	v_mul_f64 v[101:102], v[50:51], v[115:116]
	v_mul_f64 v[95:96], v[54:55], v[111:112]
	;; [unrolled: 1-line block ×3, first 2 shown]
	v_fma_f64 v[56:57], v[56:57], v[105:106], -v[99:100]
	v_fma_f64 v[58:59], v[58:59], v[105:106], v[103:104]
	v_mul_f64 v[99:100], v[46:47], v[119:120]
	v_mul_f64 v[103:104], v[44:45], v[119:120]
	v_cndmask_b32_e64 v111, 0, 0x900, s1
	v_mul_f64 v[105:106], v[34:35], v[123:124]
	v_mul_f64 v[115:116], v[40:41], v[131:132]
	v_add_nc_u32_e32 v142, 0, v111
	v_mul_f64 v[111:112], v[32:33], v[123:124]
	v_add3_u32 v156, v142, v139, v79
	v_fma_f64 v[101:102], v[48:49], v[113:114], -v[101:102]
	v_fma_f64 v[49:50], v[50:51], v[113:114], v[107:108]
	v_fma_f64 v[52:53], v[52:53], v[109:110], -v[95:96]
	v_fma_f64 v[54:55], v[54:55], v[109:110], v[97:98]
	v_mul_f64 v[95:96], v[38:39], v[127:128]
	v_mul_f64 v[97:98], v[36:37], v[127:128]
	v_mul_f64 v[109:110], v[42:43], v[131:132]
	v_fma_f64 v[44:45], v[44:45], v[117:118], -v[99:100]
	v_fma_f64 v[46:47], v[46:47], v[117:118], v[103:104]
	v_fma_f64 v[99:100], v[32:33], v[121:122], -v[105:106]
	v_mov_b32_e32 v48, 4
	v_add_f64 v[105:106], v[26:27], v[66:67]
	v_and_b32_e32 v51, 0xffff, v140
	v_fma_f64 v[103:104], v[34:35], v[121:122], v[111:112]
	v_lshlrev_b32_sdwa v158, v48, v141 dst_sel:DWORD dst_unused:UNUSED_PAD src0_sel:DWORD src1_sel:BYTE_0
	v_mad_u32_u24 v157, 0x900, v51, 0
	v_add_f64 v[111:112], v[28:29], v[52:53]
	v_add_f64 v[117:118], v[54:55], -v[49:50]
	v_fma_f64 v[32:33], v[36:37], v[125:126], -v[95:96]
	v_fma_f64 v[34:35], v[38:39], v[125:126], v[97:98]
	v_fma_f64 v[36:37], v[40:41], v[129:130], -v[109:110]
	v_fma_f64 v[38:39], v[42:43], v[129:130], v[115:116]
	v_add_f64 v[40:41], v[20:21], v[137:138]
	v_add_f64 v[95:96], v[137:138], -v[60:61]
	v_add_f64 v[42:43], v[22:23], v[93:94]
	v_add_f64 v[97:98], v[24:25], v[64:65]
	;; [unrolled: 1-line block ×6, first 2 shown]
	v_add_f64 v[66:67], v[66:67], -v[58:59]
	v_add_f64 v[123:124], v[14:15], v[46:47]
	v_add_f64 v[143:144], v[46:47], -v[103:104]
	v_add_f64 v[145:146], v[44:45], -v[99:100]
	v_add_f64 v[127:128], v[16:17], v[32:33]
	v_add_f64 v[131:132], v[18:19], v[34:35]
	;; [unrolled: 1-line block ×3, first 2 shown]
	v_add_f64 v[147:148], v[34:35], -v[38:39]
	v_add_f64 v[149:150], v[32:33], -v[36:37]
	v_add_f64 v[32:33], v[40:41], v[60:61]
	v_fma_f64 v[46:47], v[109:110], -0.5, v[26:27]
	v_mul_f64 v[107:108], v[2:3], v[135:136]
	v_mul_f64 v[113:114], v[0:1], v[135:136]
	;; [unrolled: 1-line block ×4, first 2 shown]
	v_fma_f64 v[0:1], v[0:1], v[133:134], -v[107:108]
	v_fma_f64 v[2:3], v[2:3], v[133:134], v[113:114]
	v_fma_f64 v[4:5], v[4:5], v[68:69], -v[119:120]
	v_fma_f64 v[6:7], v[6:7], v[68:69], v[70:71]
	v_add_f64 v[68:69], v[137:138], v[60:61]
	v_add_f64 v[70:71], v[93:94], v[62:63]
	;; [unrolled: 1-line block ×6, first 2 shown]
	v_add_f64 v[93:94], v[93:94], -v[62:63]
	v_add_f64 v[34:35], v[42:43], v[62:63]
	v_add_f64 v[64:65], v[64:65], -v[56:57]
	v_add_f64 v[119:120], v[52:53], -v[101:102]
	v_add_f64 v[51:52], v[12:13], v[44:45]
	v_fma_f64 v[60:61], v[121:122], -0.5, v[12:13]
	v_add_f64 v[12:13], v[127:128], v[36:37]
	v_add_f64 v[135:136], v[8:9], v[0:1]
	;; [unrolled: 1-line block ×5, first 2 shown]
	v_add_f64 v[151:152], v[2:3], -v[6:7]
	v_add_f64 v[153:154], v[0:1], -v[4:5]
	v_fma_f64 v[40:41], v[68:69], -0.5, v[20:21]
	v_fma_f64 v[42:43], v[70:71], -0.5, v[22:23]
	v_add_f64 v[20:21], v[97:98], v[56:57]
	v_add_f64 v[22:23], v[105:106], v[58:59]
	v_fma_f64 v[56:57], v[115:116], -0.5, v[28:29]
	v_fma_f64 v[58:59], v[54:55], -0.5, v[30:31]
	;; [unrolled: 1-line block ×6, first 2 shown]
	v_add_f64 v[14:15], v[131:132], v[38:39]
	v_add_f64 v[24:25], v[111:112], v[101:102]
	;; [unrolled: 1-line block ×7, first 2 shown]
	v_fma_f64 v[8:9], v[137:138], -0.5, v[8:9]
	v_fma_f64 v[10:11], v[141:142], -0.5, v[10:11]
	v_fma_f64 v[16:17], v[93:94], s[4:5], v[40:41]
	v_fma_f64 v[18:19], v[95:96], s[6:7], v[42:43]
	;; [unrolled: 1-line block ×24, first 2 shown]
	v_lshlrev_b32_sdwa v69, v48, v155 dst_sel:DWORD dst_unused:UNUSED_PAD src0_sel:DWORD src1_sel:BYTE_0
	v_add3_u32 v70, v157, v158, v79
	v_add3_u32 v69, 0, v69, v79
	ds_write_b128 v73, v[32:35]
	ds_write_b128 v73, v[16:19] offset:768
	ds_write_b128 v73, v[36:39] offset:1536
	ds_write_b128 v156, v[24:27]
	ds_write_b128 v156, v[49:52] offset:768
	ds_write_b128 v156, v[53:56] offset:1536
	;; [unrolled: 1-line block ×5, first 2 shown]
	ds_write_b128 v70, v[28:31]
	ds_write_b128 v70, v[57:60] offset:768
	ds_write_b128 v70, v[61:64] offset:1536
	;; [unrolled: 1-line block ×5, first 2 shown]
	s_and_saveexec_b32 s1, s0
	s_cbranch_execz .LBB0_19
; %bb.18:
	v_lshlrev_b32_sdwa v12, v48, v88 dst_sel:DWORD dst_unused:UNUSED_PAD src0_sel:DWORD src1_sel:BYTE_0
	v_add3_u32 v12, 0, v12, v79
	ds_write_b128 v12, v[0:3] offset:4608
	ds_write_b128 v12, v[4:7] offset:5376
	;; [unrolled: 1-line block ×3, first 2 shown]
.LBB0_19:
	s_or_b32 exec_lo, exec_lo, s1
	s_waitcnt lgkmcnt(0)
	s_barrier
	buffer_gl0_inv
	ds_read_b128 v[24:27], v89
	ds_read_b128 v[68:71], v73 offset:2304
	ds_read_b128 v[56:59], v73 offset:4608
	ds_read_b128 v[48:51], v73 offset:5040
	ds_read_b128 v[64:67], v73 offset:2736
	ds_read_b128 v[52:55], v73 offset:3168
	ds_read_b128 v[20:23], v91
	ds_read_b128 v[12:15], v83
	ds_read_b128 v[60:63], v73 offset:5472
	ds_read_b128 v[32:35], v73 offset:5904
	ds_read_b128 v[16:19], v81
	ds_read_b128 v[44:47], v73 offset:3600
	ds_read_b128 v[36:39], v73 offset:4032
	ds_read_b128 v[28:31], v92
	ds_read_b128 v[40:43], v73 offset:6336
	s_and_saveexec_b32 s1, s0
	s_cbranch_execz .LBB0_21
; %bb.20:
	ds_read_b128 v[0:3], v87
	ds_read_b128 v[4:7], v73 offset:4464
	ds_read_b128 v[8:11], v73 offset:6768
.LBB0_21:
	s_or_b32 exec_lo, exec_lo, s1
	v_lshlrev_b32_e32 v87, 1, v74
	v_mov_b32_e32 v88, 0
	v_add_co_u32 v93, s1, 0x800, v85
	v_add_co_ci_u32_e64 v94, s1, 0, v86, s1
	v_lshlrev_b64 v[101:102], 4, v[87:88]
	v_add_co_u32 v85, s1, 0x8d0, v85
	v_add_co_ci_u32_e64 v86, s1, 0, v86, s1
	v_lshlrev_b32_e32 v87, 1, v84
	v_add_co_u32 v79, s1, s8, v101
	v_add_co_ci_u32_e64 v103, s1, s9, v102, s1
	s_clause 0x1
	global_load_dwordx4 v[93:96], v[93:94], off offset:208
	global_load_dwordx4 v[97:100], v[85:86], off offset:16
	v_lshlrev_b64 v[85:86], 4, v[87:88]
	v_add_co_u32 v101, s1, 0x800, v79
	v_add_co_ci_u32_e64 v102, s1, 0, v103, s1
	v_add_co_u32 v105, s1, 0x8d0, v79
	v_add_co_ci_u32_e64 v106, s1, 0, v103, s1
	v_lshlrev_b32_e32 v87, 1, v82
	v_add_co_u32 v79, s1, s8, v85
	v_add_co_ci_u32_e64 v103, s1, s9, v86, s1
	v_lshlrev_b64 v[109:110], 4, v[87:88]
	v_add_co_u32 v111, s1, 0x800, v79
	v_add_co_ci_u32_e64 v112, s1, 0, v103, s1
	v_lshlrev_b32_e32 v87, 1, v80
	v_add_co_u32 v113, s1, 0x8d0, v79
	v_add_co_ci_u32_e64 v114, s1, 0, v103, s1
	v_add_co_u32 v79, s1, s8, v109
	v_lshlrev_b64 v[85:86], 4, v[87:88]
	v_add_co_ci_u32_e64 v87, s1, s9, v110, s1
	v_add_co_u32 v121, s1, 0x8d0, v79
	s_clause 0x1
	global_load_dwordx4 v[101:104], v[101:102], off offset:208
	global_load_dwordx4 v[105:108], v[105:106], off offset:16
	v_add_co_ci_u32_e64 v122, s1, 0, v87, s1
	v_add_co_u32 v117, s1, s8, v85
	v_add_co_ci_u32_e64 v118, s1, s9, v86, s1
	v_add_co_u32 v85, s1, 0x800, v79
	;; [unrolled: 2-line block ×3, first 2 shown]
	s_clause 0x1
	global_load_dwordx4 v[109:112], v[111:112], off offset:208
	global_load_dwordx4 v[113:116], v[113:114], off offset:16
	v_add_co_ci_u32_e64 v126, s1, 0, v118, s1
	v_add_co_u32 v129, s1, 0x8d0, v117
	v_add_co_ci_u32_e64 v130, s1, 0, v118, s1
	s_clause 0x3
	global_load_dwordx4 v[117:120], v[85:86], off offset:208
	global_load_dwordx4 v[121:124], v[121:122], off offset:16
	;; [unrolled: 1-line block ×4, first 2 shown]
	s_mov_b32 s6, s4
	s_waitcnt vmcnt(0) lgkmcnt(0)
	s_barrier
	buffer_gl0_inv
	v_mul_f64 v[85:86], v[70:71], v[95:96]
	v_mul_f64 v[95:96], v[68:69], v[95:96]
	;; [unrolled: 1-line block ×4, first 2 shown]
	v_fma_f64 v[68:69], v[68:69], v[93:94], -v[85:86]
	v_fma_f64 v[70:71], v[70:71], v[93:94], v[95:96]
	v_fma_f64 v[56:57], v[56:57], v[97:98], -v[133:134]
	v_fma_f64 v[58:59], v[58:59], v[97:98], v[99:100]
	v_mul_f64 v[135:136], v[66:67], v[103:104]
	v_mul_f64 v[103:104], v[64:65], v[103:104]
	;; [unrolled: 1-line block ×4, first 2 shown]
	v_add_f64 v[97:98], v[24:25], v[68:69]
	v_mul_f64 v[139:140], v[54:55], v[111:112]
	v_mul_f64 v[111:112], v[52:53], v[111:112]
	;; [unrolled: 1-line block ×4, first 2 shown]
	v_add_f64 v[99:100], v[68:69], v[56:57]
	v_mul_f64 v[85:86], v[46:47], v[119:120]
	v_mul_f64 v[93:94], v[34:35], v[123:124]
	;; [unrolled: 1-line block ×8, first 2 shown]
	v_fma_f64 v[64:65], v[64:65], v[101:102], -v[135:136]
	v_fma_f64 v[66:67], v[66:67], v[101:102], v[103:104]
	v_fma_f64 v[48:49], v[48:49], v[105:106], -v[137:138]
	v_fma_f64 v[50:51], v[50:51], v[105:106], v[107:108]
	v_add_f64 v[101:102], v[26:27], v[70:71]
	v_add_f64 v[68:69], v[68:69], -v[56:57]
	v_fma_f64 v[52:53], v[52:53], v[109:110], -v[139:140]
	v_fma_f64 v[54:55], v[54:55], v[109:110], v[111:112]
	v_fma_f64 v[60:61], v[60:61], v[113:114], -v[141:142]
	v_fma_f64 v[62:63], v[62:63], v[113:114], v[115:116]
	v_fma_f64 v[24:25], v[99:100], -0.5, v[24:25]
	v_fma_f64 v[44:45], v[44:45], v[117:118], -v[85:86]
	v_fma_f64 v[85:86], v[32:33], v[121:122], -v[93:94]
	v_fma_f64 v[46:47], v[46:47], v[117:118], v[95:96]
	v_fma_f64 v[93:94], v[34:35], v[121:122], v[119:120]
	v_fma_f64 v[36:37], v[36:37], v[125:126], -v[123:124]
	v_fma_f64 v[40:41], v[40:41], v[129:130], -v[133:134]
	v_fma_f64 v[38:39], v[38:39], v[125:126], v[127:128]
	v_fma_f64 v[42:43], v[42:43], v[129:130], v[131:132]
	v_add_f64 v[95:96], v[70:71], v[58:59]
	v_add_f64 v[109:110], v[30:31], v[66:67]
	;; [unrolled: 1-line block ×3, first 2 shown]
	v_add_f64 v[107:108], v[66:67], -v[50:51]
	v_add_f64 v[66:67], v[66:67], v[50:51]
	v_add_f64 v[103:104], v[28:29], v[64:65]
	;; [unrolled: 1-line block ×3, first 2 shown]
	v_add_f64 v[70:71], v[70:71], -v[58:59]
	v_add_f64 v[34:35], v[101:102], v[58:59]
	v_add_f64 v[111:112], v[20:21], v[52:53]
	;; [unrolled: 1-line block ×4, first 2 shown]
	v_add_f64 v[115:116], v[54:55], -v[62:63]
	v_add_f64 v[54:55], v[54:55], v[62:63]
	v_add_f64 v[119:120], v[52:53], -v[60:61]
	v_add_f64 v[52:53], v[44:45], v[85:86]
	v_add_f64 v[64:65], v[64:65], -v[48:49]
	v_add_f64 v[56:57], v[46:47], v[93:94]
	v_add_f64 v[101:102], v[44:45], -v[85:86]
	v_add_f64 v[97:98], v[36:37], v[40:41]
	v_add_f64 v[121:122], v[18:19], v[38:39]
	v_add_f64 v[58:59], v[38:39], v[42:43]
	v_fma_f64 v[26:27], v[95:96], -0.5, v[26:27]
	v_add_f64 v[95:96], v[12:13], v[44:45]
	v_add_f64 v[44:45], v[16:17], v[36:37]
	v_fma_f64 v[105:106], v[105:106], -0.5, v[28:29]
	v_fma_f64 v[66:67], v[66:67], -0.5, v[30:31]
	v_add_f64 v[99:100], v[46:47], -v[93:94]
	v_add_f64 v[46:47], v[14:15], v[46:47]
	v_add_f64 v[123:124], v[38:39], -v[42:43]
	v_add_f64 v[125:126], v[36:37], -v[40:41]
	v_fma_f64 v[113:114], v[113:114], -0.5, v[20:21]
	v_add_f64 v[20:21], v[103:104], v[48:49]
	v_fma_f64 v[54:55], v[54:55], -0.5, v[22:23]
	v_add_f64 v[22:23], v[109:110], v[50:51]
	;; [unrolled: 2-line block ×4, first 2 shown]
	v_fma_f64 v[97:98], v[97:98], -0.5, v[16:17]
	v_fma_f64 v[16:17], v[70:71], s[4:5], v[24:25]
	v_fma_f64 v[111:112], v[58:59], -0.5, v[18:19]
	v_fma_f64 v[18:19], v[68:69], s[6:7], v[26:27]
	v_fma_f64 v[24:25], v[70:71], s[6:7], v[24:25]
	;; [unrolled: 1-line block ×3, first 2 shown]
	v_add_f64 v[36:37], v[44:45], v[40:41]
	v_add_f64 v[38:39], v[121:122], v[42:43]
	v_fma_f64 v[40:41], v[107:108], s[4:5], v[105:106]
	v_fma_f64 v[42:43], v[64:65], s[6:7], v[66:67]
	v_add_f64 v[30:31], v[46:47], v[93:94]
	v_fma_f64 v[44:45], v[107:108], s[6:7], v[105:106]
	v_fma_f64 v[46:47], v[64:65], s[4:5], v[66:67]
	;; [unrolled: 3-line block ×3, first 2 shown]
	v_fma_f64 v[50:51], v[119:120], s[6:7], v[54:55]
	v_fma_f64 v[54:55], v[119:120], s[4:5], v[54:55]
	;; [unrolled: 1-line block ×10, first 2 shown]
	ds_write_b128 v73, v[32:35]
	ds_write_b128 v73, v[16:19] offset:2304
	ds_write_b128 v73, v[24:27] offset:4608
	ds_write_b128 v92, v[20:23]
	ds_write_b128 v92, v[40:43] offset:2304
	ds_write_b128 v92, v[44:47] offset:4608
	;; [unrolled: 3-line block ×5, first 2 shown]
	s_and_saveexec_b32 s1, s0
	s_cbranch_execz .LBB0_23
; %bb.22:
	v_add_nc_u32_e32 v12, -9, v72
	v_cndmask_b32_e64 v12, v12, v78, s0
	v_lshlrev_b32_e32 v87, 1, v12
	v_lshlrev_b64 v[12:13], 4, v[87:88]
	v_add_co_u32 v14, s0, s8, v12
	v_add_co_ci_u32_e64 v15, s0, s9, v13, s0
	v_add_co_u32 v12, s0, 0x800, v14
	v_add_co_ci_u32_e64 v13, s0, 0, v15, s0
	;; [unrolled: 2-line block ×3, first 2 shown]
	s_clause 0x1
	global_load_dwordx4 v[12:15], v[12:13], off offset:208
	global_load_dwordx4 v[16:19], v[16:17], off offset:16
	s_waitcnt vmcnt(1)
	v_mul_f64 v[20:21], v[4:5], v[14:15]
	s_waitcnt vmcnt(0)
	v_mul_f64 v[22:23], v[8:9], v[18:19]
	v_mul_f64 v[14:15], v[6:7], v[14:15]
	;; [unrolled: 1-line block ×3, first 2 shown]
	v_fma_f64 v[6:7], v[6:7], v[12:13], v[20:21]
	v_fma_f64 v[10:11], v[10:11], v[16:17], v[22:23]
	v_fma_f64 v[4:5], v[4:5], v[12:13], -v[14:15]
	v_fma_f64 v[8:9], v[8:9], v[16:17], -v[18:19]
	v_add_f64 v[18:19], v[2:3], v[6:7]
	v_add_f64 v[12:13], v[6:7], v[10:11]
	v_add_f64 v[20:21], v[6:7], -v[10:11]
	v_add_f64 v[14:15], v[4:5], v[8:9]
	v_add_f64 v[16:17], v[4:5], -v[8:9]
	v_add_f64 v[4:5], v[0:1], v[4:5]
	v_fma_f64 v[12:13], v[12:13], -0.5, v[2:3]
	v_add_f64 v[2:3], v[18:19], v[10:11]
	v_fma_f64 v[14:15], v[14:15], -0.5, v[0:1]
	v_add_f64 v[0:1], v[4:5], v[8:9]
	v_fma_f64 v[10:11], v[16:17], s[6:7], v[12:13]
	v_fma_f64 v[6:7], v[16:17], s[4:5], v[12:13]
	;; [unrolled: 1-line block ×4, first 2 shown]
	ds_write_b128 v73, v[0:3] offset:2160
	ds_write_b128 v73, v[8:11] offset:4464
	ds_write_b128 v73, v[4:7] offset:6768
.LBB0_23:
	s_or_b32 exec_lo, exec_lo, s1
	s_waitcnt lgkmcnt(0)
	s_barrier
	buffer_gl0_inv
	ds_read_b128 v[4:7], v89
	v_sub_nc_u32_e32 v12, v90, v75
	s_add_u32 s1, s8, 0x1ad0
	s_addc_u32 s4, s9, 0
	s_mov_b32 s5, exec_lo
                                        ; implicit-def: $vgpr0_vgpr1
                                        ; implicit-def: $vgpr8_vgpr9
                                        ; implicit-def: $vgpr10_vgpr11
	v_cmpx_ne_u32_e32 0, v72
	s_xor_b32 s5, exec_lo, s5
	s_cbranch_execz .LBB0_25
; %bb.24:
	v_mov_b32_e32 v73, 0
	v_lshlrev_b64 v[0:1], 4, v[72:73]
	v_add_co_u32 v0, s0, s1, v0
	v_add_co_ci_u32_e64 v1, s0, s4, v1, s0
	global_load_dwordx4 v[13:16], v[0:1], off
	ds_read_b128 v[0:3], v12 offset:6912
	s_waitcnt lgkmcnt(0)
	v_add_f64 v[8:9], v[4:5], -v[0:1]
	v_add_f64 v[10:11], v[6:7], v[2:3]
	v_add_f64 v[2:3], v[6:7], -v[2:3]
	v_add_f64 v[0:1], v[4:5], v[0:1]
	v_mul_f64 v[6:7], v[8:9], 0.5
	v_mul_f64 v[4:5], v[10:11], 0.5
	;; [unrolled: 1-line block ×3, first 2 shown]
	s_waitcnt vmcnt(0)
	v_mul_f64 v[8:9], v[6:7], v[15:16]
	v_fma_f64 v[10:11], v[4:5], v[15:16], v[2:3]
	v_fma_f64 v[2:3], v[4:5], v[15:16], -v[2:3]
	v_fma_f64 v[17:18], v[0:1], 0.5, v[8:9]
	v_fma_f64 v[0:1], v[0:1], 0.5, -v[8:9]
	v_fma_f64 v[10:11], -v[13:14], v[6:7], v[10:11]
	v_fma_f64 v[2:3], -v[13:14], v[6:7], v[2:3]
	v_fma_f64 v[8:9], v[4:5], v[13:14], v[17:18]
	v_fma_f64 v[0:1], -v[4:5], v[13:14], v[0:1]
                                        ; implicit-def: $vgpr4_vgpr5
.LBB0_25:
	s_andn2_saveexec_b32 s0, s5
	s_cbranch_execz .LBB0_27
; %bb.26:
	ds_read_b64 v[13:14], v90 offset:3464
	s_waitcnt lgkmcnt(1)
	v_add_f64 v[8:9], v[4:5], v[6:7]
	v_add_f64 v[0:1], v[4:5], -v[6:7]
	v_mov_b32_e32 v10, 0
	v_mov_b32_e32 v11, 0
	;; [unrolled: 1-line block ×4, first 2 shown]
	s_waitcnt lgkmcnt(0)
	v_xor_b32_e32 v14, 0x80000000, v14
	ds_write_b64 v90, v[13:14] offset:3464
.LBB0_27:
	s_or_b32 exec_lo, exec_lo, s0
	v_mov_b32_e32 v75, 0
	v_lshl_add_u32 v25, v74, 4, v90
	ds_write2_b64 v89, v[8:9], v[10:11] offset1:1
	ds_write_b128 v12, v[0:3] offset:6912
	v_lshl_add_u32 v26, v84, 4, v90
	s_waitcnt lgkmcnt(2)
	v_lshlrev_b64 v[4:5], 4, v[74:75]
	v_mov_b32_e32 v85, v75
	v_mov_b32_e32 v83, v75
	;; [unrolled: 1-line block ×4, first 2 shown]
	v_add_nc_u32_e32 v74, 0xa2, v72
	v_add_co_u32 v4, s0, s1, v4
	v_add_co_ci_u32_e64 v5, s0, s4, v5, s0
	v_lshlrev_b64 v[13:14], 4, v[84:85]
	v_lshlrev_b64 v[17:18], 4, v[82:83]
	global_load_dwordx4 v[4:7], v[4:5], off
	v_add_co_u32 v13, s0, s1, v13
	v_add_co_ci_u32_e64 v14, s0, s4, v14, s0
	v_add_co_u32 v17, s0, s1, v17
	v_add_co_ci_u32_e64 v18, s0, s4, v18, s0
	global_load_dwordx4 v[13:16], v[13:14], off
	ds_read_b128 v[0:3], v25
	ds_read_b128 v[8:11], v12 offset:6480
	global_load_dwordx4 v[17:20], v[17:18], off
	s_waitcnt lgkmcnt(0)
	v_add_f64 v[21:22], v[0:1], -v[8:9]
	v_add_f64 v[23:24], v[2:3], v[10:11]
	v_add_f64 v[2:3], v[2:3], -v[10:11]
	v_add_f64 v[0:1], v[0:1], v[8:9]
	v_mul_f64 v[10:11], v[21:22], 0.5
	v_mul_f64 v[21:22], v[23:24], 0.5
	;; [unrolled: 1-line block ×3, first 2 shown]
	s_waitcnt vmcnt(2)
	v_mul_f64 v[8:9], v[10:11], v[6:7]
	v_fma_f64 v[23:24], v[21:22], v[6:7], v[2:3]
	v_fma_f64 v[2:3], v[21:22], v[6:7], -v[2:3]
	v_fma_f64 v[6:7], v[0:1], 0.5, v[8:9]
	v_fma_f64 v[0:1], v[0:1], 0.5, -v[8:9]
	v_fma_f64 v[8:9], -v[4:5], v[10:11], v[23:24]
	v_fma_f64 v[2:3], -v[4:5], v[10:11], v[2:3]
	v_lshlrev_b64 v[10:11], 4, v[80:81]
	v_fma_f64 v[6:7], v[21:22], v[4:5], v[6:7]
	v_fma_f64 v[0:1], -v[21:22], v[4:5], v[0:1]
	ds_write2_b64 v25, v[6:7], v[8:9] offset1:1
	ds_write_b128 v12, v[0:3] offset:6480
	v_add_co_u32 v8, s0, s1, v10
	ds_read_b128 v[0:3], v26
	ds_read_b128 v[4:7], v12 offset:6048
	v_add_co_ci_u32_e64 v9, s0, s4, v11, s0
	v_lshl_add_u32 v25, v82, 4, v90
	global_load_dwordx4 v[8:11], v[8:9], off
	s_waitcnt lgkmcnt(0)
	v_add_f64 v[21:22], v[0:1], -v[4:5]
	v_add_f64 v[23:24], v[2:3], v[6:7]
	v_add_f64 v[2:3], v[2:3], -v[6:7]
	v_add_f64 v[0:1], v[0:1], v[4:5]
	v_mul_f64 v[6:7], v[21:22], 0.5
	v_mul_f64 v[21:22], v[23:24], 0.5
	;; [unrolled: 1-line block ×3, first 2 shown]
	s_waitcnt vmcnt(2)
	v_mul_f64 v[4:5], v[6:7], v[15:16]
	v_fma_f64 v[23:24], v[21:22], v[15:16], v[2:3]
	v_fma_f64 v[2:3], v[21:22], v[15:16], -v[2:3]
	v_fma_f64 v[15:16], v[0:1], 0.5, v[4:5]
	v_fma_f64 v[0:1], v[0:1], 0.5, -v[4:5]
	v_fma_f64 v[4:5], -v[13:14], v[6:7], v[23:24]
	v_fma_f64 v[2:3], -v[13:14], v[6:7], v[2:3]
	v_fma_f64 v[6:7], v[21:22], v[13:14], v[15:16]
	v_fma_f64 v[0:1], -v[21:22], v[13:14], v[0:1]
	v_lshlrev_b64 v[13:14], 4, v[78:79]
	ds_write2_b64 v26, v[6:7], v[4:5] offset1:1
	ds_write_b128 v12, v[0:3] offset:6048
	v_add_co_u32 v13, s0, s1, v13
	ds_read_b128 v[0:3], v25
	ds_read_b128 v[4:7], v12 offset:5616
	v_add_co_ci_u32_e64 v14, s0, s4, v14, s0
	v_lshl_add_u32 v26, v80, 4, v90
	global_load_dwordx4 v[13:16], v[13:14], off
	s_waitcnt lgkmcnt(0)
	v_add_f64 v[21:22], v[0:1], -v[4:5]
	v_add_f64 v[23:24], v[2:3], v[6:7]
	v_add_f64 v[2:3], v[2:3], -v[6:7]
	v_add_f64 v[0:1], v[0:1], v[4:5]
	v_mul_f64 v[6:7], v[21:22], 0.5
	v_mul_f64 v[21:22], v[23:24], 0.5
	;; [unrolled: 1-line block ×3, first 2 shown]
	s_waitcnt vmcnt(2)
	v_mul_f64 v[4:5], v[6:7], v[19:20]
	v_fma_f64 v[23:24], v[21:22], v[19:20], v[2:3]
	v_fma_f64 v[2:3], v[21:22], v[19:20], -v[2:3]
	v_fma_f64 v[19:20], v[0:1], 0.5, v[4:5]
	v_fma_f64 v[0:1], v[0:1], 0.5, -v[4:5]
	v_fma_f64 v[4:5], -v[17:18], v[6:7], v[23:24]
	v_fma_f64 v[2:3], -v[17:18], v[6:7], v[2:3]
	v_fma_f64 v[6:7], v[21:22], v[17:18], v[19:20]
	v_fma_f64 v[0:1], -v[21:22], v[17:18], v[0:1]
	v_lshlrev_b64 v[17:18], 4, v[74:75]
	v_add_nc_u32_e32 v74, 0xbd, v72
	ds_write2_b64 v25, v[6:7], v[4:5] offset1:1
	ds_write_b128 v12, v[0:3] offset:5616
	v_add_co_u32 v17, s0, s1, v17
	ds_read_b128 v[0:3], v26
	ds_read_b128 v[4:7], v12 offset:5184
	v_add_co_ci_u32_e64 v18, s0, s4, v18, s0
	v_lshl_add_u32 v25, v78, 4, v90
	global_load_dwordx4 v[17:20], v[17:18], off
	s_waitcnt lgkmcnt(0)
	v_add_f64 v[21:22], v[0:1], -v[4:5]
	v_add_f64 v[23:24], v[2:3], v[6:7]
	v_add_f64 v[2:3], v[2:3], -v[6:7]
	v_add_f64 v[0:1], v[0:1], v[4:5]
	v_mul_f64 v[6:7], v[21:22], 0.5
	v_mul_f64 v[21:22], v[23:24], 0.5
	;; [unrolled: 1-line block ×3, first 2 shown]
	s_waitcnt vmcnt(2)
	v_mul_f64 v[4:5], v[6:7], v[10:11]
	v_fma_f64 v[23:24], v[21:22], v[10:11], v[2:3]
	v_fma_f64 v[2:3], v[21:22], v[10:11], -v[2:3]
	v_fma_f64 v[10:11], v[0:1], 0.5, v[4:5]
	v_fma_f64 v[0:1], v[0:1], 0.5, -v[4:5]
	v_fma_f64 v[4:5], -v[8:9], v[6:7], v[23:24]
	v_fma_f64 v[2:3], -v[8:9], v[6:7], v[2:3]
	v_fma_f64 v[6:7], v[21:22], v[8:9], v[10:11]
	v_fma_f64 v[0:1], -v[21:22], v[8:9], v[0:1]
	v_lshlrev_b64 v[8:9], 4, v[74:75]
	ds_write2_b64 v26, v[6:7], v[4:5] offset1:1
	ds_write_b128 v12, v[0:3] offset:5184
	v_add_co_u32 v8, s0, s1, v8
	ds_read_b128 v[0:3], v25
	ds_read_b128 v[4:7], v12 offset:4752
	v_add_co_ci_u32_e64 v9, s0, s4, v9, s0
	global_load_dwordx4 v[8:11], v[8:9], off
	s_waitcnt lgkmcnt(0)
	v_add_f64 v[21:22], v[0:1], -v[4:5]
	v_add_f64 v[23:24], v[2:3], v[6:7]
	v_add_f64 v[2:3], v[2:3], -v[6:7]
	v_add_f64 v[0:1], v[0:1], v[4:5]
	v_mul_f64 v[6:7], v[21:22], 0.5
	v_mul_f64 v[21:22], v[23:24], 0.5
	;; [unrolled: 1-line block ×3, first 2 shown]
	s_waitcnt vmcnt(2)
	v_mul_f64 v[4:5], v[6:7], v[15:16]
	v_fma_f64 v[23:24], v[21:22], v[15:16], v[2:3]
	v_fma_f64 v[2:3], v[21:22], v[15:16], -v[2:3]
	v_fma_f64 v[15:16], v[0:1], 0.5, v[4:5]
	v_fma_f64 v[0:1], v[0:1], 0.5, -v[4:5]
	v_fma_f64 v[4:5], -v[13:14], v[6:7], v[23:24]
	v_fma_f64 v[2:3], -v[13:14], v[6:7], v[2:3]
	v_fma_f64 v[6:7], v[21:22], v[13:14], v[15:16]
	v_fma_f64 v[0:1], -v[21:22], v[13:14], v[0:1]
	ds_write2_b64 v25, v[6:7], v[4:5] offset1:1
	ds_write_b128 v12, v[0:3] offset:4752
	ds_read_b128 v[0:3], v89 offset:2592
	ds_read_b128 v[4:7], v12 offset:4320
	s_waitcnt lgkmcnt(0)
	v_add_f64 v[13:14], v[0:1], -v[4:5]
	v_add_f64 v[15:16], v[2:3], v[6:7]
	v_add_f64 v[2:3], v[2:3], -v[6:7]
	v_add_f64 v[0:1], v[0:1], v[4:5]
	v_mul_f64 v[6:7], v[13:14], 0.5
	v_mul_f64 v[13:14], v[15:16], 0.5
	;; [unrolled: 1-line block ×3, first 2 shown]
	s_waitcnt vmcnt(1)
	v_mul_f64 v[4:5], v[6:7], v[19:20]
	v_fma_f64 v[15:16], v[13:14], v[19:20], v[2:3]
	v_fma_f64 v[2:3], v[13:14], v[19:20], -v[2:3]
	v_fma_f64 v[19:20], v[0:1], 0.5, v[4:5]
	v_fma_f64 v[0:1], v[0:1], 0.5, -v[4:5]
	v_fma_f64 v[4:5], -v[17:18], v[6:7], v[15:16]
	v_fma_f64 v[2:3], -v[17:18], v[6:7], v[2:3]
	v_fma_f64 v[6:7], v[13:14], v[17:18], v[19:20]
	v_fma_f64 v[0:1], -v[13:14], v[17:18], v[0:1]
	v_add_nc_u32_e32 v17, 0x800, v89
	ds_write2_b64 v17, v[6:7], v[4:5] offset0:68 offset1:69
	ds_write_b128 v12, v[0:3] offset:4320
	ds_read_b128 v[0:3], v89 offset:3024
	ds_read_b128 v[4:7], v12 offset:3888
	s_waitcnt lgkmcnt(0)
	v_add_f64 v[13:14], v[0:1], -v[4:5]
	v_add_f64 v[15:16], v[2:3], v[6:7]
	v_add_f64 v[2:3], v[2:3], -v[6:7]
	v_add_f64 v[0:1], v[0:1], v[4:5]
	v_mul_f64 v[6:7], v[13:14], 0.5
	v_mul_f64 v[13:14], v[15:16], 0.5
	;; [unrolled: 1-line block ×3, first 2 shown]
	s_waitcnt vmcnt(0)
	v_mul_f64 v[4:5], v[6:7], v[10:11]
	v_fma_f64 v[15:16], v[13:14], v[10:11], v[2:3]
	v_fma_f64 v[2:3], v[13:14], v[10:11], -v[2:3]
	v_fma_f64 v[10:11], v[0:1], 0.5, v[4:5]
	v_fma_f64 v[0:1], v[0:1], 0.5, -v[4:5]
	v_fma_f64 v[4:5], -v[8:9], v[6:7], v[15:16]
	v_fma_f64 v[2:3], -v[8:9], v[6:7], v[2:3]
	v_fma_f64 v[6:7], v[13:14], v[8:9], v[10:11]
	v_fma_f64 v[0:1], -v[13:14], v[8:9], v[0:1]
	ds_write2_b64 v17, v[6:7], v[4:5] offset0:122 offset1:123
	ds_write_b128 v12, v[0:3] offset:3888
	s_waitcnt lgkmcnt(0)
	s_barrier
	buffer_gl0_inv
	s_and_saveexec_b32 s0, vcc_lo
	s_cbranch_execz .LBB0_30
; %bb.28:
	ds_read_b128 v[2:5], v89
	ds_read_b128 v[6:9], v89 offset:432
	ds_read_b128 v[10:13], v89 offset:864
	;; [unrolled: 1-line block ×3, first 2 shown]
	v_mov_b32_e32 v73, v75
	v_add_co_u32 v0, vcc_lo, s2, v76
	ds_read_b128 v[18:21], v89 offset:1728
	v_add_co_ci_u32_e32 v1, vcc_lo, s3, v77, vcc_lo
	v_lshlrev_b64 v[22:23], 4, v[72:73]
	v_add_co_u32 v46, vcc_lo, v0, v22
	v_add_co_ci_u32_e32 v47, vcc_lo, v1, v23, vcc_lo
	ds_read_b128 v[22:25], v89 offset:2160
	v_add_co_u32 v48, vcc_lo, 0x800, v46
	s_waitcnt lgkmcnt(5)
	global_store_dwordx4 v[46:47], v[2:5], off
	s_waitcnt lgkmcnt(4)
	global_store_dwordx4 v[46:47], v[6:9], off offset:432
	s_waitcnt lgkmcnt(3)
	global_store_dwordx4 v[46:47], v[10:13], off offset:864
	;; [unrolled: 2-line block ×3, first 2 shown]
	ds_read_b128 v[2:5], v89 offset:2592
	ds_read_b128 v[6:9], v89 offset:3024
	;; [unrolled: 1-line block ×6, first 2 shown]
	v_add_co_ci_u32_e32 v49, vcc_lo, 0, v47, vcc_lo
	s_waitcnt lgkmcnt(7)
	global_store_dwordx4 v[46:47], v[18:21], off offset:1728
	ds_read_b128 v[18:21], v89 offset:5184
	ds_read_b128 v[34:37], v89 offset:5616
	;; [unrolled: 1-line block ×4, first 2 shown]
	s_waitcnt lgkmcnt(10)
	global_store_dwordx4 v[48:49], v[22:25], off offset:112
	v_add_co_u32 v22, vcc_lo, 0x1000, v46
	v_add_co_ci_u32_e32 v23, vcc_lo, 0, v47, vcc_lo
	s_waitcnt lgkmcnt(9)
	global_store_dwordx4 v[48:49], v[2:5], off offset:544
	s_waitcnt lgkmcnt(8)
	global_store_dwordx4 v[48:49], v[6:9], off offset:976
	;; [unrolled: 2-line block ×6, first 2 shown]
	v_add_co_u32 v2, vcc_lo, 0x1800, v46
	v_add_co_ci_u32_e32 v3, vcc_lo, 0, v47, vcc_lo
	v_cmp_eq_u32_e32 vcc_lo, 26, v72
	s_waitcnt lgkmcnt(3)
	global_store_dwordx4 v[22:23], v[18:21], off offset:1088
	s_waitcnt lgkmcnt(2)
	global_store_dwordx4 v[22:23], v[34:37], off offset:1520
	;; [unrolled: 2-line block ×4, first 2 shown]
	s_and_b32 exec_lo, exec_lo, vcc_lo
	s_cbranch_execz .LBB0_30
; %bb.29:
	ds_read_b128 v[2:5], v89 offset:6496
	v_add_co_u32 v0, vcc_lo, 0x1800, v0
	v_add_co_ci_u32_e32 v1, vcc_lo, 0, v1, vcc_lo
	s_waitcnt lgkmcnt(0)
	global_store_dwordx4 v[0:1], v[2:5], off offset:768
.LBB0_30:
	s_endpgm
	.section	.rodata,"a",@progbits
	.p2align	6, 0x0
	.amdhsa_kernel fft_rtc_fwd_len432_factors_3_16_3_3_wgs_54_tpt_27_halfLds_dp_ip_CI_unitstride_sbrr_R2C_dirReg
		.amdhsa_group_segment_fixed_size 0
		.amdhsa_private_segment_fixed_size 0
		.amdhsa_kernarg_size 88
		.amdhsa_user_sgpr_count 6
		.amdhsa_user_sgpr_private_segment_buffer 1
		.amdhsa_user_sgpr_dispatch_ptr 0
		.amdhsa_user_sgpr_queue_ptr 0
		.amdhsa_user_sgpr_kernarg_segment_ptr 1
		.amdhsa_user_sgpr_dispatch_id 0
		.amdhsa_user_sgpr_flat_scratch_init 0
		.amdhsa_user_sgpr_private_segment_size 0
		.amdhsa_wavefront_size32 1
		.amdhsa_uses_dynamic_stack 0
		.amdhsa_system_sgpr_private_segment_wavefront_offset 0
		.amdhsa_system_sgpr_workgroup_id_x 1
		.amdhsa_system_sgpr_workgroup_id_y 0
		.amdhsa_system_sgpr_workgroup_id_z 0
		.amdhsa_system_sgpr_workgroup_info 0
		.amdhsa_system_vgpr_workitem_id 0
		.amdhsa_next_free_vgpr 159
		.amdhsa_next_free_sgpr 21
		.amdhsa_reserve_vcc 1
		.amdhsa_reserve_flat_scratch 0
		.amdhsa_float_round_mode_32 0
		.amdhsa_float_round_mode_16_64 0
		.amdhsa_float_denorm_mode_32 3
		.amdhsa_float_denorm_mode_16_64 3
		.amdhsa_dx10_clamp 1
		.amdhsa_ieee_mode 1
		.amdhsa_fp16_overflow 0
		.amdhsa_workgroup_processor_mode 1
		.amdhsa_memory_ordered 1
		.amdhsa_forward_progress 0
		.amdhsa_shared_vgpr_count 0
		.amdhsa_exception_fp_ieee_invalid_op 0
		.amdhsa_exception_fp_denorm_src 0
		.amdhsa_exception_fp_ieee_div_zero 0
		.amdhsa_exception_fp_ieee_overflow 0
		.amdhsa_exception_fp_ieee_underflow 0
		.amdhsa_exception_fp_ieee_inexact 0
		.amdhsa_exception_int_div_zero 0
	.end_amdhsa_kernel
	.text
.Lfunc_end0:
	.size	fft_rtc_fwd_len432_factors_3_16_3_3_wgs_54_tpt_27_halfLds_dp_ip_CI_unitstride_sbrr_R2C_dirReg, .Lfunc_end0-fft_rtc_fwd_len432_factors_3_16_3_3_wgs_54_tpt_27_halfLds_dp_ip_CI_unitstride_sbrr_R2C_dirReg
                                        ; -- End function
	.section	.AMDGPU.csdata,"",@progbits
; Kernel info:
; codeLenInByte = 11312
; NumSgprs: 23
; NumVgprs: 159
; ScratchSize: 0
; MemoryBound: 0
; FloatMode: 240
; IeeeMode: 1
; LDSByteSize: 0 bytes/workgroup (compile time only)
; SGPRBlocks: 2
; VGPRBlocks: 19
; NumSGPRsForWavesPerEU: 23
; NumVGPRsForWavesPerEU: 159
; Occupancy: 6
; WaveLimiterHint : 1
; COMPUTE_PGM_RSRC2:SCRATCH_EN: 0
; COMPUTE_PGM_RSRC2:USER_SGPR: 6
; COMPUTE_PGM_RSRC2:TRAP_HANDLER: 0
; COMPUTE_PGM_RSRC2:TGID_X_EN: 1
; COMPUTE_PGM_RSRC2:TGID_Y_EN: 0
; COMPUTE_PGM_RSRC2:TGID_Z_EN: 0
; COMPUTE_PGM_RSRC2:TIDIG_COMP_CNT: 0
	.text
	.p2alignl 6, 3214868480
	.fill 48, 4, 3214868480
	.type	__hip_cuid_680d3fe639e8be18,@object ; @__hip_cuid_680d3fe639e8be18
	.section	.bss,"aw",@nobits
	.globl	__hip_cuid_680d3fe639e8be18
__hip_cuid_680d3fe639e8be18:
	.byte	0                               ; 0x0
	.size	__hip_cuid_680d3fe639e8be18, 1

	.ident	"AMD clang version 19.0.0git (https://github.com/RadeonOpenCompute/llvm-project roc-6.4.0 25133 c7fe45cf4b819c5991fe208aaa96edf142730f1d)"
	.section	".note.GNU-stack","",@progbits
	.addrsig
	.addrsig_sym __hip_cuid_680d3fe639e8be18
	.amdgpu_metadata
---
amdhsa.kernels:
  - .args:
      - .actual_access:  read_only
        .address_space:  global
        .offset:         0
        .size:           8
        .value_kind:     global_buffer
      - .offset:         8
        .size:           8
        .value_kind:     by_value
      - .actual_access:  read_only
        .address_space:  global
        .offset:         16
        .size:           8
        .value_kind:     global_buffer
      - .actual_access:  read_only
        .address_space:  global
        .offset:         24
        .size:           8
        .value_kind:     global_buffer
      - .offset:         32
        .size:           8
        .value_kind:     by_value
      - .actual_access:  read_only
        .address_space:  global
        .offset:         40
        .size:           8
        .value_kind:     global_buffer
      - .actual_access:  read_only
        .address_space:  global
        .offset:         48
        .size:           8
        .value_kind:     global_buffer
      - .offset:         56
        .size:           4
        .value_kind:     by_value
      - .actual_access:  read_only
        .address_space:  global
        .offset:         64
        .size:           8
        .value_kind:     global_buffer
      - .actual_access:  read_only
        .address_space:  global
        .offset:         72
        .size:           8
        .value_kind:     global_buffer
      - .address_space:  global
        .offset:         80
        .size:           8
        .value_kind:     global_buffer
    .group_segment_fixed_size: 0
    .kernarg_segment_align: 8
    .kernarg_segment_size: 88
    .language:       OpenCL C
    .language_version:
      - 2
      - 0
    .max_flat_workgroup_size: 54
    .name:           fft_rtc_fwd_len432_factors_3_16_3_3_wgs_54_tpt_27_halfLds_dp_ip_CI_unitstride_sbrr_R2C_dirReg
    .private_segment_fixed_size: 0
    .sgpr_count:     23
    .sgpr_spill_count: 0
    .symbol:         fft_rtc_fwd_len432_factors_3_16_3_3_wgs_54_tpt_27_halfLds_dp_ip_CI_unitstride_sbrr_R2C_dirReg.kd
    .uniform_work_group_size: 1
    .uses_dynamic_stack: false
    .vgpr_count:     159
    .vgpr_spill_count: 0
    .wavefront_size: 32
    .workgroup_processor_mode: 1
amdhsa.target:   amdgcn-amd-amdhsa--gfx1030
amdhsa.version:
  - 1
  - 2
...

	.end_amdgpu_metadata
